;; amdgpu-corpus repo=ROCm/rocFFT kind=compiled arch=gfx950 opt=O3
	.text
	.amdgcn_target "amdgcn-amd-amdhsa--gfx950"
	.amdhsa_code_object_version 6
	.protected	fft_rtc_back_len850_factors_10_5_17_wgs_85_tpt_85_half_ip_CI_unitstride_sbrr_dirReg ; -- Begin function fft_rtc_back_len850_factors_10_5_17_wgs_85_tpt_85_half_ip_CI_unitstride_sbrr_dirReg
	.globl	fft_rtc_back_len850_factors_10_5_17_wgs_85_tpt_85_half_ip_CI_unitstride_sbrr_dirReg
	.p2align	8
	.type	fft_rtc_back_len850_factors_10_5_17_wgs_85_tpt_85_half_ip_CI_unitstride_sbrr_dirReg,@function
fft_rtc_back_len850_factors_10_5_17_wgs_85_tpt_85_half_ip_CI_unitstride_sbrr_dirReg: ; @fft_rtc_back_len850_factors_10_5_17_wgs_85_tpt_85_half_ip_CI_unitstride_sbrr_dirReg
; %bb.0:
	s_load_dwordx2 s[8:9], s[0:1], 0x50
	s_load_dwordx4 s[4:7], s[0:1], 0x0
	s_load_dwordx2 s[10:11], s[0:1], 0x18
	v_mul_u32_u24_e32 v1, 0x304, v0
	v_add_u32_sdwa v6, s2, v1 dst_sel:DWORD dst_unused:UNUSED_PAD src0_sel:DWORD src1_sel:WORD_1
	v_mov_b32_e32 v4, 0
	s_waitcnt lgkmcnt(0)
	v_cmp_lt_u64_e64 s[2:3], s[6:7], 2
	v_mov_b32_e32 v7, v4
	s_and_b64 vcc, exec, s[2:3]
	v_mov_b64_e32 v[2:3], 0
	s_cbranch_vccnz .LBB0_8
; %bb.1:
	s_load_dwordx2 s[2:3], s[0:1], 0x10
	s_add_u32 s12, s10, 8
	s_addc_u32 s13, s11, 0
	s_mov_b64 s[14:15], 1
	v_mov_b64_e32 v[2:3], 0
	s_waitcnt lgkmcnt(0)
	s_add_u32 s16, s2, 8
	s_addc_u32 s17, s3, 0
.LBB0_2:                                ; =>This Inner Loop Header: Depth=1
	s_load_dwordx2 s[18:19], s[16:17], 0x0
                                        ; implicit-def: $vgpr8_vgpr9
	s_waitcnt lgkmcnt(0)
	v_or_b32_e32 v5, s19, v7
	v_cmp_ne_u64_e32 vcc, 0, v[4:5]
	s_and_saveexec_b64 s[2:3], vcc
	s_xor_b64 s[20:21], exec, s[2:3]
	s_cbranch_execz .LBB0_4
; %bb.3:                                ;   in Loop: Header=BB0_2 Depth=1
	v_cvt_f32_u32_e32 v1, s18
	v_cvt_f32_u32_e32 v5, s19
	s_sub_u32 s2, 0, s18
	s_subb_u32 s3, 0, s19
	v_fmac_f32_e32 v1, 0x4f800000, v5
	v_rcp_f32_e32 v1, v1
	s_nop 0
	v_mul_f32_e32 v1, 0x5f7ffffc, v1
	v_mul_f32_e32 v5, 0x2f800000, v1
	v_trunc_f32_e32 v5, v5
	v_fmac_f32_e32 v1, 0xcf800000, v5
	v_cvt_u32_f32_e32 v5, v5
	v_cvt_u32_f32_e32 v1, v1
	v_mul_lo_u32 v8, s2, v5
	v_mul_hi_u32 v10, s2, v1
	v_mul_lo_u32 v9, s3, v1
	v_add_u32_e32 v10, v10, v8
	v_mul_lo_u32 v12, s2, v1
	v_add_u32_e32 v13, v10, v9
	v_mul_hi_u32 v8, v1, v12
	v_mul_hi_u32 v11, v1, v13
	v_mul_lo_u32 v10, v1, v13
	v_mov_b32_e32 v9, v4
	v_lshl_add_u64 v[8:9], v[8:9], 0, v[10:11]
	v_mul_hi_u32 v11, v5, v12
	v_mul_lo_u32 v12, v5, v12
	v_add_co_u32_e32 v8, vcc, v8, v12
	v_mul_hi_u32 v10, v5, v13
	s_nop 0
	v_addc_co_u32_e32 v8, vcc, v9, v11, vcc
	v_mov_b32_e32 v9, v4
	s_nop 0
	v_addc_co_u32_e32 v11, vcc, 0, v10, vcc
	v_mul_lo_u32 v10, v5, v13
	v_lshl_add_u64 v[8:9], v[8:9], 0, v[10:11]
	v_add_co_u32_e32 v1, vcc, v1, v8
	v_mul_lo_u32 v10, s2, v1
	s_nop 0
	v_addc_co_u32_e32 v5, vcc, v5, v9, vcc
	v_mul_lo_u32 v8, s2, v5
	v_mul_hi_u32 v9, s2, v1
	v_add_u32_e32 v8, v9, v8
	v_mul_lo_u32 v9, s3, v1
	v_add_u32_e32 v12, v8, v9
	v_mul_hi_u32 v14, v5, v10
	v_mul_lo_u32 v15, v5, v10
	v_mul_hi_u32 v9, v1, v12
	v_mul_lo_u32 v8, v1, v12
	v_mul_hi_u32 v10, v1, v10
	v_mov_b32_e32 v11, v4
	v_lshl_add_u64 v[8:9], v[10:11], 0, v[8:9]
	v_add_co_u32_e32 v8, vcc, v8, v15
	v_mul_hi_u32 v13, v5, v12
	s_nop 0
	v_addc_co_u32_e32 v8, vcc, v9, v14, vcc
	v_mul_lo_u32 v10, v5, v12
	s_nop 0
	v_addc_co_u32_e32 v11, vcc, 0, v13, vcc
	v_mov_b32_e32 v9, v4
	v_lshl_add_u64 v[8:9], v[8:9], 0, v[10:11]
	v_add_co_u32_e32 v1, vcc, v1, v8
	v_mul_hi_u32 v10, v6, v1
	s_nop 0
	v_addc_co_u32_e32 v5, vcc, v5, v9, vcc
	v_mad_u64_u32 v[8:9], s[2:3], v6, v5, 0
	v_mov_b32_e32 v11, v4
	v_lshl_add_u64 v[8:9], v[10:11], 0, v[8:9]
	v_mad_u64_u32 v[12:13], s[2:3], v7, v1, 0
	v_add_co_u32_e32 v1, vcc, v8, v12
	v_mad_u64_u32 v[10:11], s[2:3], v7, v5, 0
	s_nop 0
	v_addc_co_u32_e32 v8, vcc, v9, v13, vcc
	v_mov_b32_e32 v9, v4
	s_nop 0
	v_addc_co_u32_e32 v11, vcc, 0, v11, vcc
	v_lshl_add_u64 v[8:9], v[8:9], 0, v[10:11]
	v_mul_lo_u32 v1, s19, v8
	v_mul_lo_u32 v5, s18, v9
	v_mad_u64_u32 v[10:11], s[2:3], s18, v8, 0
	v_add3_u32 v1, v11, v5, v1
	v_sub_u32_e32 v5, v7, v1
	v_mov_b32_e32 v11, s19
	v_sub_co_u32_e32 v14, vcc, v6, v10
	v_lshl_add_u64 v[12:13], v[8:9], 0, 1
	s_nop 0
	v_subb_co_u32_e64 v5, s[2:3], v5, v11, vcc
	v_subrev_co_u32_e64 v10, s[2:3], s18, v14
	v_subb_co_u32_e32 v1, vcc, v7, v1, vcc
	s_nop 0
	v_subbrev_co_u32_e64 v5, s[2:3], 0, v5, s[2:3]
	v_cmp_le_u32_e64 s[2:3], s19, v5
	v_cmp_le_u32_e32 vcc, s19, v1
	s_nop 0
	v_cndmask_b32_e64 v11, 0, -1, s[2:3]
	v_cmp_le_u32_e64 s[2:3], s18, v10
	s_nop 1
	v_cndmask_b32_e64 v10, 0, -1, s[2:3]
	v_cmp_eq_u32_e64 s[2:3], s19, v5
	s_nop 1
	v_cndmask_b32_e64 v5, v11, v10, s[2:3]
	v_lshl_add_u64 v[10:11], v[8:9], 0, 2
	v_cmp_ne_u32_e64 s[2:3], 0, v5
	s_nop 1
	v_cndmask_b32_e64 v5, v13, v11, s[2:3]
	v_cndmask_b32_e64 v11, 0, -1, vcc
	v_cmp_le_u32_e32 vcc, s18, v14
	s_nop 1
	v_cndmask_b32_e64 v13, 0, -1, vcc
	v_cmp_eq_u32_e32 vcc, s19, v1
	s_nop 1
	v_cndmask_b32_e32 v1, v11, v13, vcc
	v_cmp_ne_u32_e32 vcc, 0, v1
	v_cndmask_b32_e64 v1, v12, v10, s[2:3]
	s_nop 0
	v_cndmask_b32_e32 v9, v9, v5, vcc
	v_cndmask_b32_e32 v8, v8, v1, vcc
.LBB0_4:                                ;   in Loop: Header=BB0_2 Depth=1
	s_andn2_saveexec_b64 s[2:3], s[20:21]
	s_cbranch_execz .LBB0_6
; %bb.5:                                ;   in Loop: Header=BB0_2 Depth=1
	v_cvt_f32_u32_e32 v1, s18
	s_sub_i32 s20, 0, s18
	v_rcp_iflag_f32_e32 v1, v1
	s_nop 0
	v_mul_f32_e32 v1, 0x4f7ffffe, v1
	v_cvt_u32_f32_e32 v1, v1
	v_mul_lo_u32 v5, s20, v1
	v_mul_hi_u32 v5, v1, v5
	v_add_u32_e32 v1, v1, v5
	v_mul_hi_u32 v1, v6, v1
	v_mul_lo_u32 v5, v1, s18
	v_sub_u32_e32 v5, v6, v5
	v_add_u32_e32 v8, 1, v1
	v_subrev_u32_e32 v9, s18, v5
	v_cmp_le_u32_e32 vcc, s18, v5
	s_nop 1
	v_cndmask_b32_e32 v5, v5, v9, vcc
	v_cndmask_b32_e32 v1, v1, v8, vcc
	v_add_u32_e32 v8, 1, v1
	v_cmp_le_u32_e32 vcc, s18, v5
	v_mov_b32_e32 v9, v4
	s_nop 0
	v_cndmask_b32_e32 v8, v1, v8, vcc
.LBB0_6:                                ;   in Loop: Header=BB0_2 Depth=1
	s_or_b64 exec, exec, s[2:3]
	v_mad_u64_u32 v[10:11], s[2:3], v8, s18, 0
	s_load_dwordx2 s[2:3], s[12:13], 0x0
	v_mul_lo_u32 v1, v9, s18
	v_mul_lo_u32 v5, v8, s19
	v_add3_u32 v1, v11, v5, v1
	v_sub_co_u32_e32 v5, vcc, v6, v10
	s_add_u32 s14, s14, 1
	s_nop 0
	v_subb_co_u32_e32 v1, vcc, v7, v1, vcc
	s_addc_u32 s15, s15, 0
	s_waitcnt lgkmcnt(0)
	v_mul_lo_u32 v1, s2, v1
	v_mul_lo_u32 v6, s3, v5
	v_mad_u64_u32 v[2:3], s[2:3], s2, v5, v[2:3]
	s_add_u32 s12, s12, 8
	v_add3_u32 v3, v6, v3, v1
	s_addc_u32 s13, s13, 0
	v_mov_b64_e32 v[6:7], s[6:7]
	s_add_u32 s16, s16, 8
	v_cmp_ge_u64_e32 vcc, s[14:15], v[6:7]
	s_addc_u32 s17, s17, 0
	s_cbranch_vccnz .LBB0_9
; %bb.7:                                ;   in Loop: Header=BB0_2 Depth=1
	v_mov_b64_e32 v[6:7], v[8:9]
	s_branch .LBB0_2
.LBB0_8:
	v_mov_b64_e32 v[8:9], v[6:7]
.LBB0_9:
	s_lshl_b64 s[2:3], s[6:7], 3
	s_add_u32 s2, s10, s2
	s_addc_u32 s3, s11, s3
	s_load_dwordx2 s[6:7], s[2:3], 0x0
	s_load_dwordx2 s[10:11], s[0:1], 0x20
                                        ; implicit-def: $vgpr12
                                        ; implicit-def: $vgpr11
                                        ; implicit-def: $vgpr7
                                        ; implicit-def: $vgpr10
                                        ; implicit-def: $vgpr6
                                        ; implicit-def: $vgpr5
	s_waitcnt lgkmcnt(0)
	v_mad_u64_u32 v[2:3], s[0:1], s6, v8, v[2:3]
	v_mul_lo_u32 v1, s6, v9
	v_mul_lo_u32 v4, s7, v8
	s_mov_b32 s0, 0x3030304
	v_add3_u32 v3, v4, v3, v1
	v_mul_hi_u32 v1, v0, s0
	v_mul_u32_u24_e32 v1, 0x55, v1
	v_cmp_gt_u64_e32 vcc, s[10:11], v[8:9]
	v_sub_u32_e32 v0, v0, v1
	v_lshl_add_u64 v[2:3], v[2:3], 2, s[8:9]
                                        ; implicit-def: $vgpr1
                                        ; implicit-def: $vgpr4
                                        ; implicit-def: $vgpr8
                                        ; implicit-def: $vgpr9
	s_and_saveexec_b64 s[0:1], vcc
	s_cbranch_execz .LBB0_11
; %bb.10:
	v_mov_b32_e32 v1, 0
	v_lshl_add_u64 v[14:15], v[0:1], 2, v[2:3]
	global_load_dword v12, v[14:15], off
	global_load_dword v10, v[14:15], off offset:340
	global_load_dword v11, v[14:15], off offset:680
	global_load_dword v6, v[14:15], off offset:1020
	global_load_dword v1, v[14:15], off offset:1360
	global_load_dword v5, v[14:15], off offset:1700
	global_load_dword v4, v[14:15], off offset:2040
	global_load_dword v8, v[14:15], off offset:2380
	global_load_dword v7, v[14:15], off offset:2720
	global_load_dword v9, v[14:15], off offset:3060
.LBB0_11:
	s_or_b64 exec, exec, s[0:1]
	s_waitcnt vmcnt(3)
	v_add_f16_e32 v14, v1, v4
	v_fma_f16 v14, v14, -0.5, v12
	s_waitcnt vmcnt(1)
	v_sub_f16_sdwa v15, v11, v7 dst_sel:DWORD dst_unused:UNUSED_PAD src0_sel:WORD_1 src1_sel:WORD_1
	s_mov_b32 s1, 0xbb9c
	s_movk_i32 s3, 0x3b9c
	v_fma_f16 v16, v15, s1, v14
	v_sub_f16_sdwa v17, v1, v4 dst_sel:DWORD dst_unused:UNUSED_PAD src0_sel:WORD_1 src1_sel:WORD_1
	s_mov_b32 s0, 0xb8b4
	v_sub_f16_e32 v18, v7, v4
	v_sub_f16_e32 v19, v11, v1
	v_fma_f16 v14, v15, s3, v14
	s_movk_i32 s6, 0x38b4
	v_fma_f16 v16, v17, s0, v16
	v_add_f16_e32 v18, v19, v18
	s_movk_i32 s2, 0x34f2
	v_fma_f16 v14, v17, s6, v14
	v_fma_f16 v16, v18, s2, v16
	;; [unrolled: 1-line block ×3, first 2 shown]
	v_add_f16_e32 v18, v11, v7
	v_fma_f16 v18, v18, -0.5, v12
	v_fma_f16 v19, v17, s3, v18
	v_fma_f16 v17, v17, s1, v18
	v_pk_add_f16 v13, v12, v11
	v_fma_f16 v19, v15, s0, v19
	v_sub_f16_e32 v20, v4, v7
	v_sub_f16_e32 v21, v1, v11
	v_fma_f16 v15, v15, s6, v17
	v_add_f16_sdwa v17, v1, v4 dst_sel:DWORD dst_unused:UNUSED_PAD src0_sel:WORD_1 src1_sel:WORD_1
	v_lshrrev_b32_e32 v12, 16, v12
	v_add_f16_e32 v20, v21, v20
	v_fma_f16 v17, v17, -0.5, v12
	v_sub_f16_e32 v18, v11, v7
	v_fma_f16 v19, v20, s2, v19
	v_fma_f16 v15, v20, s2, v15
	;; [unrolled: 1-line block ×3, first 2 shown]
	v_sub_f16_e32 v21, v1, v4
	v_sub_f16_sdwa v22, v11, v1 dst_sel:DWORD dst_unused:UNUSED_PAD src0_sel:WORD_1 src1_sel:WORD_1
	v_sub_f16_sdwa v23, v7, v4 dst_sel:DWORD dst_unused:UNUSED_PAD src0_sel:WORD_1 src1_sel:WORD_1
	v_fma_f16 v17, v18, s1, v17
	v_fma_f16 v20, v21, s6, v20
	v_add_f16_e32 v22, v22, v23
	v_fma_f16 v17, v21, s0, v17
	v_fma_f16 v20, v22, s2, v20
	v_fma_f16 v17, v22, s2, v17
	v_add_f16_sdwa v22, v11, v7 dst_sel:DWORD dst_unused:UNUSED_PAD src0_sel:WORD_1 src1_sel:WORD_1
	v_fma_f16 v12, v22, -0.5, v12
	v_fma_f16 v22, v21, s1, v12
	v_fma_f16 v12, v21, s3, v12
	;; [unrolled: 1-line block ×4, first 2 shown]
	v_add_f16_e32 v18, v5, v8
	v_sub_f16_sdwa v11, v1, v11 dst_sel:DWORD dst_unused:UNUSED_PAD src0_sel:WORD_1 src1_sel:WORD_1
	v_sub_f16_sdwa v23, v4, v7 dst_sel:DWORD dst_unused:UNUSED_PAD src0_sel:WORD_1 src1_sel:WORD_1
	v_fma_f16 v18, v18, -0.5, v10
	s_waitcnt vmcnt(0)
	v_sub_f16_sdwa v21, v6, v9 dst_sel:DWORD dst_unused:UNUSED_PAD src0_sel:WORD_1 src1_sel:WORD_1
	v_add_f16_e32 v11, v11, v23
	v_fma_f16 v23, v21, s1, v18
	v_sub_f16_sdwa v24, v5, v8 dst_sel:DWORD dst_unused:UNUSED_PAD src0_sel:WORD_1 src1_sel:WORD_1
	v_sub_f16_e32 v25, v9, v8
	v_sub_f16_e32 v26, v6, v5
	v_fma_f16 v18, v21, s3, v18
	v_fma_f16 v23, v24, s0, v23
	v_add_f16_e32 v25, v26, v25
	v_fma_f16 v18, v24, s6, v18
	v_fma_f16 v23, v25, s2, v23
	;; [unrolled: 1-line block ×3, first 2 shown]
	v_add_f16_e32 v25, v6, v9
	v_fma_f16 v25, v25, -0.5, v10
	v_fma_f16 v26, v24, s3, v25
	v_fma_f16 v24, v24, s1, v25
	;; [unrolled: 1-line block ×4, first 2 shown]
	v_pk_add_f16 v12, v10, v6
	v_fma_f16 v26, v21, s0, v26
	v_sub_f16_e32 v27, v8, v9
	v_sub_f16_e32 v28, v5, v6
	v_fma_f16 v21, v21, s6, v24
	v_add_f16_sdwa v24, v5, v8 dst_sel:DWORD dst_unused:UNUSED_PAD src0_sel:WORD_1 src1_sel:WORD_1
	v_lshrrev_b32_e32 v10, 16, v10
	v_add_f16_e32 v27, v28, v27
	v_fma_f16 v24, v24, -0.5, v10
	v_sub_f16_e32 v25, v6, v9
	v_fma_f16 v26, v27, s2, v26
	v_fma_f16 v21, v27, s2, v21
	v_fma_f16 v27, v25, s3, v24
	v_sub_f16_e32 v28, v5, v8
	v_sub_f16_sdwa v29, v6, v5 dst_sel:DWORD dst_unused:UNUSED_PAD src0_sel:WORD_1 src1_sel:WORD_1
	v_sub_f16_sdwa v30, v9, v8 dst_sel:DWORD dst_unused:UNUSED_PAD src0_sel:WORD_1 src1_sel:WORD_1
	v_fma_f16 v24, v25, s1, v24
	v_fma_f16 v27, v28, s6, v27
	v_add_f16_e32 v29, v29, v30
	v_fma_f16 v24, v28, s0, v24
	v_fma_f16 v27, v29, s2, v27
	;; [unrolled: 1-line block ×3, first 2 shown]
	v_add_f16_sdwa v29, v6, v9 dst_sel:DWORD dst_unused:UNUSED_PAD src0_sel:WORD_1 src1_sel:WORD_1
	v_fma_f16 v10, v29, -0.5, v10
	v_fma_f16 v29, v28, s1, v10
	v_sub_f16_sdwa v6, v5, v6 dst_sel:DWORD dst_unused:UNUSED_PAD src0_sel:WORD_1 src1_sel:WORD_1
	v_sub_f16_sdwa v30, v8, v9 dst_sel:DWORD dst_unused:UNUSED_PAD src0_sel:WORD_1 src1_sel:WORD_1
	v_fma_f16 v10, v28, s3, v10
	v_fma_f16 v29, v25, s6, v29
	v_add_f16_e32 v6, v6, v30
	v_fma_f16 v10, v25, s0, v10
	v_fma_f16 v29, v6, s2, v29
	;; [unrolled: 1-line block ×3, first 2 shown]
	v_mul_f16_e32 v10, 0xb8b4, v27
	s_movk_i32 s7, 0x3a79
	v_fma_f16 v10, v23, s7, v10
	v_mul_f16_e32 v31, 0xbb9c, v6
	s_mov_b32 s7, 0xb4f2
	v_pk_add_f16 v1, v13, v1
	v_mul_f16_e32 v28, 0xbb9c, v29
	v_fma_f16 v31, v21, s7, v31
	v_mul_f16_e32 v33, 0xb8b4, v24
	s_mov_b32 s7, 0xba79
	v_mul_f16_e32 v6, 0xb4f2, v6
	v_mul_f16_e32 v24, 0xba79, v24
	v_pk_add_f16 v1, v1, v4
	v_pk_add_f16 v4, v12, v5
	v_fma_f16 v28, v26, s2, v28
	v_fma_f16 v33, v18, s7, v33
	v_mul_f16_e32 v27, 0x3a79, v27
	v_mul_f16_e32 v26, 0x3b9c, v26
	v_fma_f16 v6, v21, s3, v6
	v_fma_f16 v18, v18, s6, v24
	v_pk_add_f16 v4, v4, v8
	v_add_f16_e32 v34, v14, v33
	v_fma_f16 v23, v23, s6, v27
	v_fma_f16 v26, v29, s2, v26
	v_add_f16_e32 v21, v11, v6
	v_add_f16_e32 v24, v17, v18
	v_sub_f16_e32 v11, v11, v6
	v_mul_u32_u24_e32 v6, 10, v0
	v_pk_add_f16 v1, v1, v7
	v_pk_add_f16 v4, v4, v9
	v_add_f16_e32 v25, v16, v10
	v_add_f16_e32 v30, v19, v28
	;; [unrolled: 1-line block ×3, first 2 shown]
	v_sub_f16_e32 v10, v16, v10
	v_sub_f16_e32 v16, v19, v28
	;; [unrolled: 1-line block ×4, first 2 shown]
	v_lshl_add_u32 v6, v6, 2, 0
	v_pk_add_f16 v5, v1, v4
	v_pk_add_f16 v1, v1, v4 neg_lo:[0,1] neg_hi:[0,1]
	v_pack_b32_f16 v4, v34, v24
	v_add_f16_e32 v32, v15, v31
	v_sub_f16_e32 v15, v15, v31
	v_sub_f16_e32 v14, v14, v33
	;; [unrolled: 1-line block ×3, first 2 shown]
	ds_write2_b32 v6, v4, v1 offset0:4 offset1:5
	v_pack_b32_f16 v1, v16, v20
	v_pack_b32_f16 v4, v10, v19
	ds_write2_b32 v6, v4, v1 offset0:6 offset1:7
	v_pack_b32_f16 v1, v14, v17
	v_pack_b32_f16 v4, v15, v11
	s_movk_i32 s7, 0xcd
	ds_write2_b32 v6, v4, v1 offset0:8 offset1:9
	v_mul_lo_u16_sdwa v1, v0, s7 dst_sel:DWORD dst_unused:UNUSED_PAD src0_sel:BYTE_0 src1_sel:DWORD
	v_add_f16_e32 v29, v22, v26
	v_pack_b32_f16 v7, v25, v27
	v_lshrrev_b16_e32 v1, 11, v1
	ds_write2_b32 v6, v5, v7 offset1:1
	v_pack_b32_f16 v5, v32, v21
	v_pack_b32_f16 v7, v30, v29
	v_mul_lo_u16_e32 v4, 10, v1
	ds_write2_b32 v6, v7, v5 offset0:2 offset1:3
	v_sub_u16_e32 v7, v0, v4
	v_mov_b32_e32 v4, 4
	v_lshlrev_b32_sdwa v5, v4, v7 dst_sel:DWORD dst_unused:UNUSED_PAD src0_sel:DWORD src1_sel:BYTE_0
	s_waitcnt lgkmcnt(0)
	s_barrier
	global_load_dwordx4 v[8:11], v5, s[4:5]
	v_add_u16_e32 v5, 0x55, v0
	v_mul_lo_u16_sdwa v12, v5, s7 dst_sel:DWORD dst_unused:UNUSED_PAD src0_sel:BYTE_0 src1_sel:DWORD
	v_lshrrev_b16_e32 v28, 11, v12
	v_mul_lo_u16_e32 v12, 10, v28
	v_sub_u16_e32 v24, v5, v12
	v_lshlrev_b32_sdwa v4, v4, v24 dst_sel:DWORD dst_unused:UNUSED_PAD src0_sel:DWORD src1_sel:BYTE_0
	global_load_dwordx4 v[12:15], v4, s[4:5]
	s_movk_i32 s7, 0xffdc
	v_mad_i32_i24 v22, v0, s7, v6
	v_add_u32_e32 v16, 0x600, v22
	ds_read2_b32 v[4:5], v22 offset0:170 offset1:255
	ds_read2_b32 v[16:17], v16 offset0:126 offset1:211
	ds_read2_b32 v[18:19], v22 offset1:85
	v_add_u32_e32 v20, 0x800, v22
	v_add_u32_e32 v22, 0x400, v22
	ds_read2_b32 v[22:23], v22 offset0:84 offset1:169
	ds_read2_b32 v[20:21], v20 offset0:168 offset1:253
	s_mov_b32 s7, 0x5040100
	s_mov_b32 s8, 0x7060302
	s_waitcnt lgkmcnt(3)
	v_lshrrev_b32_e32 v25, 16, v17
	s_waitcnt lgkmcnt(1)
	v_perm_b32 v30, v22, v4, s7
	v_perm_b32 v31, v22, v4, s8
	s_waitcnt lgkmcnt(0)
	v_lshrrev_b32_e32 v27, 16, v21
	v_mov_b32_e32 v29, 2
	v_lshlrev_b32_sdwa v33, v29, v24 dst_sel:DWORD dst_unused:UNUSED_PAD src0_sel:DWORD src1_sel:BYTE_0
	v_lshrrev_b32_e32 v26, 16, v19
	v_lshlrev_b32_sdwa v7, v29, v7 dst_sel:DWORD dst_unused:UNUSED_PAD src0_sel:DWORD src1_sel:BYTE_0
	v_mul_u32_u24_e32 v1, 0xc8, v1
	v_add3_u32 v1, 0, v1, v7
	s_barrier
	s_waitcnt vmcnt(1)
	v_mul_f16_sdwa v32, v8, v4 dst_sel:DWORD dst_unused:UNUSED_PAD src0_sel:WORD_1 src1_sel:WORD_1
	v_fma_f16 v4, v8, v4, v32
	v_mul_f16_sdwa v32, v9, v22 dst_sel:DWORD dst_unused:UNUSED_PAD src0_sel:WORD_1 src1_sel:WORD_1
	v_fma_f16 v32, v9, v22, v32
	v_perm_b32 v22, v9, v8, s7
	v_perm_b32 v8, v9, v8, s8
	v_pk_mul_f16 v8, v8, v30
	v_perm_b32 v9, v20, v16, s8
	v_pk_fma_f16 v30, v22, v31, v8 neg_lo:[0,0,1] neg_hi:[0,0,1]
	v_mul_f16_sdwa v22, v10, v16 dst_sel:DWORD dst_unused:UNUSED_PAD src0_sel:WORD_1 src1_sel:WORD_1
	v_perm_b32 v8, v20, v16, s7
	v_fma_f16 v16, v10, v16, v22
	v_mul_f16_sdwa v22, v11, v20 dst_sel:DWORD dst_unused:UNUSED_PAD src0_sel:WORD_1 src1_sel:WORD_1
	v_fma_f16 v20, v11, v20, v22
	v_perm_b32 v22, v11, v10, s7
	v_perm_b32 v10, v11, v10, s8
	v_pk_mul_f16 v8, v10, v8
	s_waitcnt vmcnt(0)
	v_lshrrev_b32_e32 v10, 16, v12
	v_pk_fma_f16 v31, v22, v9, v8 neg_lo:[0,0,1] neg_hi:[0,0,1]
	v_lshrrev_b32_e32 v8, 16, v5
	v_mul_f16_e32 v9, v12, v5
	v_fma_f16 v10, v10, v8, v9
	v_mul_f16_sdwa v8, v23, v13 dst_sel:DWORD dst_unused:UNUSED_PAD src0_sel:WORD_1 src1_sel:WORD_1
	v_pk_mul_f16 v5, v12, v5 op_sel:[0,1] op_sel_hi:[1,0]
	v_fma_f16 v22, v23, v13, v8
	v_mul_f16_sdwa v8, v23, v13 dst_sel:DWORD dst_unused:UNUSED_PAD src0_sel:WORD_1 src1_sel:DWORD
	v_mul_f16_sdwa v9, v23, v13 dst_sel:DWORD dst_unused:UNUSED_PAD src0_sel:DWORD src1_sel:WORD_1
	s_mov_b32 s7, 0xffff
	v_pack_b32_f16 v8, v8, v5
	v_bfi_b32 v5, s7, v9, v5
	v_pk_add_f16 v5, v8, v5 neg_lo:[0,1] neg_hi:[0,1]
	v_mul_f16_sdwa v8, v25, v14 dst_sel:DWORD dst_unused:UNUSED_PAD src0_sel:DWORD src1_sel:WORD_1
	v_fma_f16 v23, v17, v14, v8
	v_mul_f16_sdwa v8, v17, v14 dst_sel:DWORD dst_unused:UNUSED_PAD src0_sel:DWORD src1_sel:WORD_1
	v_fma_f16 v14, v25, v14, -v8
	v_mul_f16_sdwa v8, v27, v15 dst_sel:DWORD dst_unused:UNUSED_PAD src0_sel:DWORD src1_sel:WORD_1
	v_fma_f16 v17, v21, v15, v8
	v_mul_f16_sdwa v8, v21, v15 dst_sel:DWORD dst_unused:UNUSED_PAD src0_sel:DWORD src1_sel:WORD_1
	v_fma_f16 v15, v27, v15, -v8
	v_sub_f16_e32 v8, v4, v32
	v_sub_f16_e32 v9, v20, v16
	v_add_f16_e32 v34, v8, v9
	v_sub_f16_e32 v8, v32, v4
	v_sub_f16_e32 v9, v16, v20
	v_add_f16_e32 v36, v8, v9
	v_sub_f16_sdwa v8, v31, v31 dst_sel:DWORD dst_unused:UNUSED_PAD src0_sel:WORD_1 src1_sel:DWORD
	v_sub_f16_sdwa v9, v30, v30 dst_sel:DWORD dst_unused:UNUSED_PAD src0_sel:DWORD src1_sel:WORD_1
	v_add_f16_e32 v40, v9, v8
	v_sub_f16_sdwa v8, v31, v31 dst_sel:DWORD dst_unused:UNUSED_PAD src0_sel:DWORD src1_sel:WORD_1
	v_sub_f16_sdwa v9, v30, v30 dst_sel:DWORD dst_unused:UNUSED_PAD src0_sel:WORD_1 src1_sel:DWORD
	v_add_f16_e32 v42, v9, v8
	v_add_f16_e32 v8, v19, v10
	;; [unrolled: 1-line block ×6, first 2 shown]
	v_fma_f16 v8, v8, -0.5, v19
	v_sub_f16_sdwa v24, v5, v15 dst_sel:DWORD dst_unused:UNUSED_PAD src0_sel:WORD_1 src1_sel:DWORD
	v_fma_f16 v9, v24, s1, v8
	v_sub_f16_e32 v25, v5, v14
	v_sub_f16_e32 v12, v10, v22
	;; [unrolled: 1-line block ×3, first 2 shown]
	v_fma_f16 v8, v24, s3, v8
	v_fma_f16 v9, v25, s0, v9
	v_add_f16_e32 v13, v12, v13
	v_fma_f16 v8, v25, s6, v8
	v_fma_f16 v12, v13, s2, v9
	;; [unrolled: 1-line block ×3, first 2 shown]
	v_add_f16_e32 v8, v10, v17
	v_fma_f16 v8, v8, -0.5, v19
	v_fma_f16 v13, v25, s3, v8
	v_sub_f16_e32 v19, v22, v10
	v_sub_f16_e32 v43, v23, v17
	v_fma_f16 v8, v25, s1, v8
	v_fma_f16 v13, v24, s0, v13
	v_add_f16_e32 v19, v19, v43
	v_fma_f16 v8, v24, s6, v8
	v_fma_f16 v13, v19, s2, v13
	;; [unrolled: 1-line block ×3, first 2 shown]
	v_add_f16_sdwa v19, v26, v5 dst_sel:DWORD dst_unused:UNUSED_PAD src0_sel:DWORD src1_sel:WORD_1
	v_add_f16_e32 v19, v19, v5
	v_add_f16_e32 v19, v19, v14
	;; [unrolled: 1-line block ×4, first 2 shown]
	v_fma_f16 v19, v19, -0.5, v26
	v_sub_f16_e32 v10, v10, v17
	v_fma_f16 v17, v10, s3, v19
	v_sub_f16_e32 v22, v22, v23
	v_sub_f16_sdwa v23, v5, v5 dst_sel:DWORD dst_unused:UNUSED_PAD src0_sel:WORD_1 src1_sel:DWORD
	v_sub_f16_e32 v25, v15, v14
	v_fma_f16 v17, v22, s6, v17
	v_add_f16_e32 v23, v23, v25
	v_fma_f16 v25, v23, s2, v17
	v_fma_f16 v17, v10, s1, v19
	;; [unrolled: 1-line block ×4, first 2 shown]
	v_add_f16_sdwa v17, v5, v15 dst_sel:DWORD dst_unused:UNUSED_PAD src0_sel:WORD_1 src1_sel:DWORD
	v_fma_f16 v17, v17, -0.5, v26
	v_sub_f16_sdwa v5, v5, v5 dst_sel:DWORD dst_unused:UNUSED_PAD src0_sel:DWORD src1_sel:WORD_1
	v_sub_f16_e32 v14, v14, v15
	v_add_f16_e32 v21, v32, v16
	v_fma_f16 v19, v22, s1, v17
	v_add_f16_e32 v5, v5, v14
	v_fma_f16 v14, v22, s3, v17
	v_sub_f16_sdwa v27, v30, v31 dst_sel:DWORD dst_unused:UNUSED_PAD src0_sel:DWORD src1_sel:WORD_1
	v_fma_f16 v19, v10, s6, v19
	v_fma_f16 v10, v10, s0, v14
	v_fma_f16 v7, v21, -0.5, v18
	v_sub_f16_sdwa v29, v30, v31 dst_sel:DWORD dst_unused:UNUSED_PAD src0_sel:WORD_1 src1_sel:DWORD
	v_fma_f16 v26, v5, s2, v19
	v_fma_f16 v22, v5, s2, v10
	;; [unrolled: 1-line block ×4, first 2 shown]
	v_add_f16_e32 v35, v4, v20
	v_fma_f16 v7, v29, s6, v7
	v_fma_f16 v10, v34, s2, v7
	v_fma_f16 v7, v35, -0.5, v18
	v_fma_f16 v14, v29, s3, v7
	v_fma_f16 v7, v29, s1, v7
	v_sub_f16_e32 v38, v4, v20
	v_fma_f16 v7, v27, s6, v7
	v_pack_b32_f16 v4, v4, v30
	v_fma_f16 v15, v36, s2, v7
	v_pk_add_f16 v4, v18, v4
	v_bfi_b32 v7, s7, v32, v30
	v_pk_add_f16 v4, v4, v7
	v_pack_b32_f16 v7, v16, v31
	v_pk_add_f16 v4, v4, v7
	v_bfi_b32 v7, s7, v20, v31
	v_add_f16_sdwa v37, v30, v31 dst_sel:DWORD dst_unused:UNUSED_PAD src0_sel:WORD_1 src1_sel:DWORD
	v_pk_add_f16 v4, v4, v7
	v_lshrrev_b32_e32 v7, 16, v18
	v_sub_f16_e32 v39, v32, v16
	v_fma_f16 v16, v37, -0.5, v7
	v_add_f16_sdwa v41, v30, v31 dst_sel:DWORD dst_unused:UNUSED_PAD src0_sel:DWORD src1_sel:WORD_1
	v_fma_f16 v17, v38, s3, v16
	v_fma_f16 v16, v38, s1, v16
	v_fma_f16 v16, v39, s0, v16
	v_fma_f16 v7, v41, -0.5, v7
	v_fma_f16 v5, v29, s0, v5
	v_fma_f16 v17, v39, s6, v17
	v_fma_f16 v29, v40, s2, v16
	v_fma_f16 v16, v39, s1, v7
	v_fma_f16 v7, v39, s3, v7
	v_fma_f16 v5, v34, s2, v5
	v_fma_f16 v14, v27, s0, v14
	v_fma_f16 v27, v40, s2, v17
	v_fma_f16 v16, v38, s6, v16
	v_fma_f16 v7, v38, s0, v7
	v_fma_f16 v14, v36, s2, v14
	v_fma_f16 v30, v42, s2, v16
	v_fma_f16 v31, v42, s2, v7
	v_pack_b32_f16 v7, v5, v27
	ds_write2_b32 v1, v4, v7 offset1:10
	v_pack_b32_f16 v7, v14, v30
	v_pack_b32_f16 v16, v15, v31
	ds_write2_b32 v1, v7, v16 offset0:20 offset1:30
	v_pack_b32_f16 v7, v10, v29
	ds_write_b32 v1, v7 offset:160
	v_mul_u32_u24_e32 v1, 0xc8, v28
	v_add3_u32 v1, 0, v1, v33
	v_pack_b32_f16 v7, v11, v24
	v_pack_b32_f16 v16, v12, v25
	ds_write2_b32 v1, v7, v16 offset1:10
	v_pack_b32_f16 v7, v13, v26
	v_pack_b32_f16 v16, v8, v22
	ds_write2_b32 v1, v7, v16 offset0:20 offset1:30
	v_pack_b32_f16 v7, v9, v23
	ds_write_b32 v1, v7 offset:160
	v_cmp_gt_u32_e64 s[0:1], 50, v0
	v_lshrrev_b32_e32 v1, 16, v4
	s_waitcnt lgkmcnt(0)
	s_barrier
	s_waitcnt lgkmcnt(0)
                                        ; implicit-def: $vgpr38
                                        ; implicit-def: $vgpr33
                                        ; implicit-def: $vgpr35
                                        ; implicit-def: $vgpr21
                                        ; implicit-def: $vgpr36
                                        ; implicit-def: $vgpr37
                                        ; implicit-def: $vgpr19
                                        ; implicit-def: $vgpr34
                                        ; implicit-def: $vgpr32
                                        ; implicit-def: $vgpr17
                                        ; implicit-def: $vgpr28
	s_and_saveexec_b64 s[2:3], s[0:1]
	s_cbranch_execnz .LBB0_14
; %bb.12:
	s_or_b64 exec, exec, s[2:3]
	s_and_b64 s[0:1], vcc, s[0:1]
	s_and_saveexec_b64 s[2:3], s[0:1]
	s_cbranch_execnz .LBB0_15
.LBB0_13:
	s_endpgm
.LBB0_14:
	v_mul_i32_i24_e32 v1, 0xffffffdc, v0
	v_add_u32_e32 v6, v6, v1
	v_add_u32_e32 v7, 0x400, v6
	ds_read2_b32 v[4:5], v6 offset1:50
	ds_read2_b32 v[14:15], v6 offset0:100 offset1:150
	ds_read2_b32 v[10:11], v6 offset0:200 offset1:250
	;; [unrolled: 1-line block ×4, first 2 shown]
	v_add_u32_e32 v7, 0x600, v6
	ds_read2_b32 v[16:17], v7 offset0:116 offset1:166
	v_add_u32_e32 v7, 0x800, v6
	ds_read2_b32 v[18:19], v7 offset0:88 offset1:138
	ds_read2_b32 v[20:21], v7 offset0:188 offset1:238
	ds_read_b32 v33, v6 offset:3200
	s_waitcnt lgkmcnt(8)
	v_lshrrev_b32_e32 v1, 16, v4
	s_waitcnt lgkmcnt(5)
	v_lshrrev_b32_e32 v22, 16, v8
	v_lshrrev_b32_e32 v23, 16, v9
	s_waitcnt lgkmcnt(3)
	v_lshrrev_b32_e32 v28, 16, v16
	;; [unrolled: 3-line block ×5, first 2 shown]
	v_lshrrev_b32_e32 v27, 16, v5
	v_lshrrev_b32_e32 v30, 16, v14
	;; [unrolled: 1-line block ×7, first 2 shown]
	s_or_b64 exec, exec, s[2:3]
	s_and_b64 s[0:1], vcc, s[0:1]
	s_and_saveexec_b64 s[2:3], s[0:1]
	s_cbranch_execz .LBB0_13
.LBB0_15:
	v_lshlrev_b32_e32 v6, 4, v0
	v_mov_b32_e32 v7, 0
	v_lshl_add_u64 v[56:57], v[6:7], 2, s[4:5]
	global_load_dwordx4 v[40:43], v[56:57], off offset:208
	global_load_dwordx4 v[44:47], v[56:57], off offset:160
	;; [unrolled: 1-line block ×4, first 2 shown]
	s_movk_i32 s3, 0x31e1
	s_mov_b32 s0, 0xb5c8
	s_movk_i32 s2, 0x3836
	s_mov_b32 s1, 0xb964
	;; [unrolled: 2-line block ×4, first 2 shown]
	s_mov_b32 s4, 0xbbdd
	s_movk_i32 s6, 0x3b76
	s_mov_b32 s7, 0xbacd
	s_movk_i32 s10, 0x39e9
	;; [unrolled: 2-line block ×4, first 2 shown]
	s_movk_i32 s21, 0x3bf7
	s_mov_b32 s15, 0xba62
	s_movk_i32 s17, 0x35c8
	s_mov_b32 s18, 0xbbb2
	;; [unrolled: 2-line block ×4, first 2 shown]
	s_waitcnt vmcnt(3)
	v_mul_f16_sdwa v6, v33, v43 dst_sel:DWORD dst_unused:UNUSED_PAD src0_sel:DWORD src1_sel:WORD_1
	s_waitcnt vmcnt(2)
	v_mul_f16_sdwa v59, v5, v44 dst_sel:DWORD dst_unused:UNUSED_PAD src0_sel:DWORD src1_sel:WORD_1
	v_mul_f16_sdwa v39, v14, v45 dst_sel:DWORD dst_unused:UNUSED_PAD src0_sel:DWORD src1_sel:WORD_1
	;; [unrolled: 1-line block ×5, first 2 shown]
	v_fma_f16 v59, v27, v44, -v59
	v_fma_f16 v38, v38, v43, -v6
	v_mul_f16_sdwa v56, v30, v45 dst_sel:DWORD dst_unused:UNUSED_PAD src0_sel:DWORD src1_sel:WORD_1
	v_mul_f16_sdwa v65, v35, v42 dst_sel:DWORD dst_unused:UNUSED_PAD src0_sel:DWORD src1_sel:WORD_1
	v_fma_f16 v30, v30, v45, -v39
	v_fma_f16 v39, v5, v44, v60
	v_fma_f16 v33, v33, v43, v61
	v_fma_f16 v35, v35, v42, -v64
	v_add_f16_e32 v60, v38, v59
	v_mul_f16_sdwa v58, v15, v46 dst_sel:DWORD dst_unused:UNUSED_PAD src0_sel:DWORD src1_sel:WORD_1
	v_mul_f16_sdwa v66, v20, v41 dst_sel:DWORD dst_unused:UNUSED_PAD src0_sel:DWORD src1_sel:WORD_1
	s_waitcnt vmcnt(1)
	v_mul_f16_sdwa v82, v9, v48 dst_sel:DWORD dst_unused:UNUSED_PAD src0_sel:DWORD src1_sel:WORD_1
	v_mul_f16_sdwa v83, v23, v48 dst_sel:DWORD dst_unused:UNUSED_PAD src0_sel:DWORD src1_sel:WORD_1
	v_fma_f16 v56, v14, v45, v56
	v_fma_f16 v45, v21, v42, v65
	v_sub_f16_e32 v6, v39, v33
	v_add_f16_e32 v61, v35, v30
	v_mul_f16_e32 v64, 0xbbdd, v60
	v_mul_f16_sdwa v57, v31, v46 dst_sel:DWORD dst_unused:UNUSED_PAD src0_sel:DWORD src1_sel:WORD_1
	v_mul_f16_sdwa v62, v10, v47 dst_sel:DWORD dst_unused:UNUSED_PAD src0_sel:DWORD src1_sel:WORD_1
	;; [unrolled: 1-line block ×6, first 2 shown]
	s_waitcnt vmcnt(0)
	v_mul_f16_sdwa v76, v25, v53 dst_sel:DWORD dst_unused:UNUSED_PAD src0_sel:DWORD src1_sel:WORD_1
	v_fma_f16 v31, v31, v46, -v58
	v_fma_f16 v36, v36, v41, -v66
	v_fma_f16 v58, v23, v48, -v82
	v_fma_f16 v48, v9, v48, v83
	v_sub_f16_e32 v9, v56, v45
	v_mul_f16_e32 v65, 0x3b76, v61
	v_fma_f16 v5, v6, s3, v64
	v_mul_f16_sdwa v63, v29, v47 dst_sel:DWORD dst_unused:UNUSED_PAD src0_sel:DWORD src1_sel:WORD_1
	v_mul_f16_sdwa v69, v37, v40 dst_sel:DWORD dst_unused:UNUSED_PAD src0_sel:DWORD src1_sel:WORD_1
	v_mul_f16_sdwa v71, v11, v52 dst_sel:DWORD dst_unused:UNUSED_PAD src0_sel:DWORD src1_sel:WORD_1
	v_mul_f16_sdwa v75, v12, v53 dst_sel:DWORD dst_unused:UNUSED_PAD src0_sel:DWORD src1_sel:WORD_1
	v_fma_f16 v57, v15, v46, v57
	v_fma_f16 v29, v29, v47, -v62
	v_fma_f16 v46, v20, v41, v67
	v_fma_f16 v37, v37, v40, -v68
	;; [unrolled: 2-line block ×3, first 2 shown]
	v_fma_f16 v51, v12, v53, v76
	v_add_f16_e32 v62, v36, v31
	v_fma_f16 v12, v9, s0, v65
	v_add_f16_e32 v5, v1, v5
	v_mul_f16_sdwa v72, v24, v52 dst_sel:DWORD dst_unused:UNUSED_PAD src0_sel:DWORD src1_sel:WORD_1
	v_mul_f16_sdwa v79, v13, v54 dst_sel:DWORD dst_unused:UNUSED_PAD src0_sel:DWORD src1_sel:WORD_1
	;; [unrolled: 1-line block ×3, first 2 shown]
	v_fma_f16 v44, v10, v47, v63
	v_fma_f16 v40, v19, v40, v69
	v_fma_f16 v43, v24, v52, -v71
	v_sub_f16_e32 v10, v57, v46
	v_add_f16_e32 v63, v37, v29
	v_mul_f16_e32 v66, 0xbacd, v62
	v_add_f16_e32 v5, v5, v12
	v_mul_f16_sdwa v12, v22, v55 dst_sel:DWORD dst_unused:UNUSED_PAD src0_sel:DWORD src1_sel:WORD_1
	v_mul_f16_sdwa v74, v17, v50 dst_sel:DWORD dst_unused:UNUSED_PAD src0_sel:DWORD src1_sel:WORD_1
	v_fma_f16 v41, v11, v52, v72
	v_fma_f16 v47, v25, v53, -v75
	v_fma_f16 v53, v26, v54, -v79
	v_fma_f16 v54, v13, v54, v80
	v_sub_f16_e32 v11, v44, v40
	v_mul_f16_e32 v67, 0x39e9, v63
	v_fma_f16 v13, v10, s2, v66
	v_fma_f16 v68, v8, v55, v12
	v_mul_f16_sdwa v8, v8, v55 dst_sel:DWORD dst_unused:UNUSED_PAD src0_sel:DWORD src1_sel:WORD_1
	v_add_f16_e32 v69, v34, v43
	v_mul_f16_sdwa v77, v32, v50 dst_sel:DWORD dst_unused:UNUSED_PAD src0_sel:DWORD src1_sel:WORD_1
	v_fma_f16 v32, v32, v50, -v74
	v_fma_f16 v14, v11, s1, v67
	v_add_f16_e32 v5, v5, v13
	v_fma_f16 v55, v22, v55, -v8
	v_mul_f16_e32 v70, 0xb8d2, v69
	v_sub_f16_e32 v8, v41, v42
	v_mul_f16_sdwa v78, v16, v49 dst_sel:DWORD dst_unused:UNUSED_PAD src0_sel:DWORD src1_sel:WORD_1
	v_fma_f16 v50, v17, v50, v77
	v_add_f16_e32 v5, v5, v14
	v_fma_f16 v12, v8, s16, v70
	v_add_f16_e32 v71, v32, v47
	v_mul_f16_sdwa v81, v28, v49 dst_sel:DWORD dst_unused:UNUSED_PAD src0_sel:DWORD src1_sel:WORD_1
	v_fma_f16 v52, v28, v49, -v78
	v_add_f16_e32 v5, v5, v12
	v_mul_f16_e32 v72, 0x3722, v71
	v_sub_f16_e32 v12, v51, v50
	v_fma_f16 v49, v16, v49, v81
	v_fma_f16 v13, v12, s5, v72
	v_add_f16_e32 v73, v52, v53
	v_add_f16_e32 v5, v5, v13
	v_mul_f16_e32 v74, 0xb461, v73
	v_sub_f16_e32 v13, v54, v49
	v_fma_f16 v14, v13, s11, v74
	v_add_f16_e32 v75, v58, v55
	v_add_f16_e32 v5, v5, v14
	v_mul_f16_e32 v76, 0x2de8, v75
	v_sub_f16_e32 v14, v68, v48
	v_fma_f16 v15, v14, s8, v76
	v_sub_f16_e32 v77, v59, v38
	v_add_f16_e32 v5, v5, v15
	v_add_f16_e32 v15, v33, v39
	v_mul_f16_e32 v78, 0xb1e1, v77
	v_fma_f16 v16, v15, s4, v78
	v_sub_f16_e32 v79, v30, v35
	v_add_f16_e32 v17, v4, v16
	v_add_f16_e32 v16, v45, v56
	v_mul_f16_e32 v80, 0x35c8, v79
	;; [unrolled: 5-line block ×8, first 2 shown]
	v_fma_f16 v24, v23, s14, v92
	v_mul_f16_e32 v93, 0xbacd, v60
	v_add_f16_e32 v19, v19, v24
	v_fma_f16 v24, v6, s2, v93
	v_mul_f16_e32 v94, 0x3722, v61
	v_add_f16_e32 v24, v1, v24
	v_fma_f16 v25, v9, s5, v94
	v_mul_f16_e32 v95, 0x2de8, v62
	v_add_f16_e32 v24, v24, v25
	v_fma_f16 v25, v10, s21, v95
	v_mul_f16_e32 v96, 0xb8d2, v63
	v_add_f16_e32 v24, v24, v25
	v_fma_f16 v25, v11, s15, v96
	v_mul_f16_e32 v97, 0x3b76, v69
	v_add_f16_e32 v24, v24, v25
	v_fma_f16 v25, v8, s17, v97
	v_mul_f16_e32 v98, 0xbbdd, v71
	v_add_f16_e32 v24, v24, v25
	v_fma_f16 v25, v12, s3, v98
	v_mul_f16_e32 v99, 0x39e9, v73
	v_add_f16_e32 v24, v24, v25
	v_fma_f16 v25, v13, s1, v99
	v_mul_f16_e32 v100, 0xb461, v75
	v_add_f16_e32 v24, v24, v25
	v_fma_f16 v25, v14, s11, v100
	v_mul_f16_e32 v101, 0xb836, v77
	v_add_f16_e32 v24, v24, v25
	v_fma_f16 v25, v15, s7, v101
	v_mul_f16_e32 v102, 0x3b29, v79
	v_add_f16_e32 v25, v4, v25
	v_fma_f16 v26, v16, s12, v102
	v_mul_f16_e32 v103, 0xbbf7, v81
	v_add_f16_e32 v25, v25, v26
	v_fma_f16 v26, v17, s14, v103
	v_mul_f16_e32 v104, 0x3a62, v83
	v_add_f16_e32 v25, v25, v26
	v_fma_f16 v26, v18, s9, v104
	v_mul_f16_e32 v105, 0xb5c8, v85
	v_add_f16_e32 v25, v25, v26
	v_fma_f16 v26, v20, s6, v105
	v_mul_f16_e32 v106, 0xb1e1, v87
	v_add_f16_e32 v25, v25, v26
	v_fma_f16 v26, v21, s4, v106
	v_mul_f16_e32 v107, 0x3964, v89
	v_add_f16_e32 v25, v25, v26
	v_fma_f16 v26, v22, s10, v107
	v_mul_f16_e32 v108, 0xbbb2, v91
	v_add_f16_e32 v25, v25, v26
	v_fma_f16 v26, v23, s13, v108
	v_mul_f16_e32 v109, 0xb8d2, v60
	v_add_f16_e32 v25, v25, v26
	v_fma_f16 v26, v6, s16, v109
	v_mul_f16_e32 v110, 0xb461, v61
	v_add_f16_e32 v26, v1, v26
	v_fma_f16 v27, v9, s18, v110
	v_mul_f16_e32 v111, 0x3b76, v62
	v_add_f16_e32 v26, v26, v27
	v_fma_f16 v27, v10, s17, v111
	v_mul_f16_e32 v112, 0xbacd, v63
	v_add_f16_e32 v26, v26, v27
	v_fma_f16 v27, v11, s2, v112
	v_mul_f16_e32 v113, 0x2de8, v69
	v_add_f16_e32 v26, v26, v27
	v_fma_f16 v27, v8, s8, v113
	v_mul_f16_e32 v114, 0x39e9, v71
	v_add_f16_e32 v26, v26, v27
	v_fma_f16 v27, v12, s20, v114
	v_mul_f16_e32 v115, 0xbbdd, v73
	v_add_f16_e32 v26, v26, v27
	v_fma_f16 v27, v13, s3, v115
	v_mul_f16_e32 v116, 0x3722, v75
	v_add_f16_e32 v26, v26, v27
	v_fma_f16 v27, v14, s5, v116
	v_mul_f16_e32 v117, 0xba62, v77
	v_add_f16_e32 v26, v26, v27
	v_fma_f16 v27, v15, s9, v117
	v_mul_f16_e32 v118, 0x3bb2, v79
	v_add_f16_e32 v27, v4, v27
	v_fma_f16 v28, v16, s13, v118
	v_mul_f16_e32 v119, 0xb5c8, v81
	v_add_f16_e32 v27, v27, v28
	v_fma_f16 v28, v17, s6, v119
	v_mul_f16_e32 v120, 0xb836, v83
	v_add_f16_e32 v27, v27, v28
	v_fma_f16 v28, v18, s7, v120
	v_mul_f16_e32 v121, 0x3bf7, v85
	v_add_f16_e32 v27, v27, v28
	v_fma_f16 v28, v20, s14, v121
	v_mul_f16_e32 v122, 0xb964, v87
	v_add_f16_e32 v27, v27, v28
	v_fma_f16 v28, v21, s10, v122
	v_mul_f16_e32 v123, 0xb1e1, v89
	v_add_f16_e32 v27, v27, v28
	v_fma_f16 v28, v22, s4, v123
	v_mul_f16_e32 v124, 0x3b29, v91
	v_add_f16_e32 v27, v27, v28
	v_fma_f16 v28, v23, s12, v124
	v_mul_f16_e32 v125, 0xb461, v60
	v_add_f16_e32 v27, v27, v28
	v_fma_f16 v28, v6, s11, v125
	v_mul_f16_e32 v126, 0xbacd, v61
	v_add_f16_e32 v28, v1, v28
	v_fma_f16 v127, v9, s19, v126
	v_add_f16_e32 v28, v28, v127
	v_mul_f16_e32 v127, 0x39e9, v62
	v_fma_f16 v128, v10, s1, v127
	v_add_f16_e32 v28, v28, v128
	v_mul_f16_e32 v128, 0x3722, v63
	v_fma_f16 v129, v11, s22, v128
	v_add_f16_e32 v39, v4, v39
	v_add_f16_e32 v28, v28, v129
	v_mul_f16_e32 v129, 0xbbdd, v69
	v_add_f16_e32 v39, v39, v56
	v_fma_f16 v130, v8, s3, v129
	v_add_f16_e32 v39, v39, v57
	v_add_f16_e32 v28, v28, v130
	v_mul_f16_e32 v130, 0x2de8, v71
	v_add_f16_e32 v39, v39, v44
	v_fma_f16 v131, v12, s8, v130
	v_add_f16_e32 v39, v39, v41
	v_add_f16_e32 v28, v28, v131
	v_mul_f16_e32 v131, 0x3b76, v73
	v_add_f16_e32 v39, v39, v51
	v_fma_f16 v132, v13, s17, v131
	v_add_f16_e32 v39, v39, v54
	v_add_f16_e32 v28, v28, v132
	v_mul_f16_e32 v132, 0xb8d2, v75
	v_add_f16_e32 v39, v39, v68
	v_fma_f16 v133, v14, s16, v132
	v_add_f16_e32 v39, v48, v39
	v_add_f16_e32 v28, v28, v133
	v_mul_f16_e32 v133, 0xbbb2, v77
	v_add_f16_e32 v39, v49, v39
	v_fma_f16 v134, v15, s13, v133
	v_mul_f16_e32 v135, 0x3836, v79
	v_add_f16_e32 v39, v50, v39
	v_add_f16_e32 v134, v4, v134
	v_fma_f16 v136, v16, s7, v135
	v_add_f16_e32 v39, v42, v39
	v_add_f16_e32 v134, v134, v136
	v_mul_f16_e32 v136, 0x3964, v81
	v_add_f16_e32 v39, v40, v39
	v_fma_f16 v137, v17, s10, v136
	v_add_f16_e32 v39, v46, v39
	v_add_f16_e32 v134, v134, v137
	v_mul_f16_e32 v137, 0xbb29, v83
	v_add_f16_e32 v39, v45, v39
	v_fma_f16 v138, v18, s12, v137
	v_add_f16_e32 v33, v33, v39
	v_add_f16_e32 v39, v1, v59
	;; [unrolled: 1-line block ×3, first 2 shown]
	v_mul_f16_e32 v138, 0xb1e1, v85
	v_add_f16_e32 v30, v39, v30
	v_fma_f16 v139, v20, s4, v138
	v_add_f16_e32 v30, v30, v31
	v_add_f16_e32 v134, v134, v139
	v_mul_f16_e32 v139, 0x3bf7, v87
	v_add_f16_e32 v29, v30, v29
	v_fma_f16 v30, v6, s23, v64
	v_fma_f16 v140, v21, s14, v139
	v_add_f16_e32 v30, v1, v30
	v_fma_f16 v31, v9, s17, v65
	v_add_f16_e32 v134, v134, v140
	v_mul_f16_e32 v140, 0xb5c8, v89
	v_add_f16_e32 v30, v30, v31
	v_fma_f16 v31, v10, s19, v66
	v_fma_f16 v141, v22, s6, v140
	v_add_f16_e32 v29, v29, v43
	v_add_f16_e32 v30, v30, v31
	v_fma_f16 v31, v11, s20, v67
	v_add_f16_e32 v134, v134, v141
	v_mul_f16_e32 v141, 0xba62, v91
	v_add_f16_e32 v29, v29, v47
	v_add_f16_e32 v30, v30, v31
	v_fma_f16 v31, v8, s15, v70
	v_fma_f16 v142, v23, s9, v141
	v_add_f16_e32 v29, v29, v53
	v_add_f16_e32 v30, v30, v31
	v_fma_f16 v31, v12, s22, v72
	v_add_f16_e32 v134, v134, v142
	v_mul_f16_e32 v142, 0x2de8, v60
	v_add_f16_e32 v29, v29, v55
	v_add_f16_e32 v30, v30, v31
	v_fma_f16 v31, v13, s18, v74
	v_fma_f16 v143, v6, s21, v142
	v_mul_f16_e32 v144, 0xbbdd, v61
	v_add_f16_e32 v29, v58, v29
	v_add_f16_e32 v30, v30, v31
	v_fma_f16 v31, v14, s21, v76
	v_add_f16_e32 v143, v1, v143
	v_fma_f16 v145, v9, s3, v144
	v_add_f16_e32 v29, v52, v29
	v_add_f16_e32 v30, v30, v31
	v_fma_f16 v31, v15, s4, -v78
	v_add_f16_e32 v143, v143, v145
	v_mul_f16_e32 v145, 0xb461, v62
	v_add_f16_e32 v29, v32, v29
	v_add_f16_e32 v31, v4, v31
	v_fma_f16 v32, v16, s6, -v80
	v_fma_f16 v146, v10, s18, v145
	v_add_f16_e32 v31, v31, v32
	v_fma_f16 v32, v17, s7, -v82
	v_add_f16_e32 v143, v143, v146
	v_mul_f16_e32 v146, 0x3b76, v63
	v_add_f16_e32 v31, v31, v32
	v_fma_f16 v32, v18, s10, -v84
	v_fma_f16 v147, v11, s0, v146
	v_add_f16_e32 v31, v31, v32
	v_fma_f16 v32, v20, s9, -v86
	v_add_f16_e32 v143, v143, v147
	v_mul_f16_e32 v147, 0x3722, v69
	;; [unrolled: 7-line block ×3, first 2 shown]
	v_add_f16_e32 v31, v31, v32
	v_fma_f16 v32, v23, s14, -v92
	v_fma_f16 v149, v12, s2, v148
	v_add_f16_e32 v31, v31, v32
	v_fma_f16 v32, v6, s19, v93
	v_add_f16_e32 v143, v143, v149
	v_mul_f16_e32 v149, 0xb8d2, v73
	v_add_f16_e32 v29, v34, v29
	v_add_f16_e32 v32, v1, v32
	v_fma_f16 v34, v9, s22, v94
	v_fma_f16 v150, v13, s15, v149
	v_add_f16_e32 v32, v32, v34
	v_fma_f16 v34, v10, s8, v95
	v_add_f16_e32 v143, v143, v150
	v_mul_f16_e32 v150, 0x39e9, v75
	v_add_f16_e32 v32, v32, v34
	v_fma_f16 v34, v11, s16, v96
	v_fma_f16 v151, v14, s1, v150
	v_add_f16_e32 v32, v32, v34
	v_fma_f16 v34, v8, s0, v97
	v_add_f16_e32 v143, v143, v151
	v_mul_f16_e32 v151, 0xbbf7, v77
	v_add_f16_e32 v32, v32, v34
	v_fma_f16 v34, v12, s23, v98
	v_fma_f16 v152, v15, s14, v151
	v_mul_f16_e32 v153, 0xb1e1, v79
	v_add_f16_e32 v32, v32, v34
	v_fma_f16 v34, v13, s20, v99
	v_add_f16_e32 v152, v4, v152
	v_fma_f16 v154, v16, s4, v153
	v_add_f16_e32 v29, v37, v29
	v_add_f16_e32 v32, v32, v34
	v_fma_f16 v34, v14, s18, v100
	v_add_f16_e32 v152, v152, v154
	v_mul_f16_e32 v154, 0x3bb2, v81
	v_add_f16_e32 v29, v36, v29
	v_add_f16_e32 v32, v32, v34
	v_fma_f16 v34, v15, s7, -v101
	v_fma_f16 v155, v17, s13, v154
	v_add_f16_e32 v29, v35, v29
	v_add_f16_e32 v34, v4, v34
	v_fma_f16 v35, v16, s12, -v102
	v_add_f16_e32 v152, v152, v155
	v_mul_f16_e32 v155, 0x35c8, v83
	v_add_f16_e32 v34, v34, v35
	v_fma_f16 v35, v17, s14, -v103
	v_fma_f16 v156, v18, s6, v155
	v_add_f16_e32 v34, v34, v35
	v_fma_f16 v35, v18, s9, -v104
	v_add_f16_e32 v152, v152, v156
	v_mul_f16_e32 v156, 0xbb29, v85
	v_add_f16_e32 v34, v34, v35
	v_fma_f16 v35, v20, s6, -v105
	v_fma_f16 v157, v20, s12, v156
	v_add_f16_e32 v34, v34, v35
	v_fma_f16 v35, v21, s4, -v106
	v_add_f16_e32 v152, v152, v157
	v_mul_f16_e32 v157, 0xb836, v87
	v_add_f16_e32 v34, v34, v35
	v_fma_f16 v35, v22, s10, -v107
	v_fma_f16 v158, v21, s7, v157
	v_add_f16_e32 v34, v34, v35
	v_fma_f16 v35, v23, s13, -v108
	v_add_f16_e32 v152, v152, v158
	v_mul_f16_e32 v158, 0x3a62, v89
	v_add_f16_e32 v34, v34, v35
	v_fma_f16 v35, v6, s15, v109
	v_fma_f16 v159, v22, s9, v158
	v_add_f16_e32 v35, v1, v35
	v_fma_f16 v36, v9, s11, v110
	v_add_f16_e32 v152, v152, v159
	v_mul_f16_e32 v159, 0x3964, v91
	v_add_f16_e32 v35, v35, v36
	v_fma_f16 v36, v10, s0, v111
	v_fma_f16 v160, v23, s10, v159
	v_add_f16_e32 v35, v35, v36
	v_fma_f16 v36, v11, s19, v112
	v_add_f16_e32 v152, v152, v160
	v_mul_f16_e32 v160, 0x3722, v60
	v_add_f16_e32 v35, v35, v36
	v_fma_f16 v36, v8, s21, v113
	v_fma_f16 v161, v6, s22, v160
	v_mul_f16_e32 v162, 0xb8d2, v61
	v_add_f16_e32 v35, v35, v36
	v_fma_f16 v36, v12, s1, v114
	v_add_f16_e32 v161, v1, v161
	v_fma_f16 v163, v9, s16, v162
	v_add_f16_e32 v35, v35, v36
	v_fma_f16 v36, v13, s23, v115
	v_add_f16_e32 v161, v161, v163
	v_mul_f16_e32 v163, 0xbbdd, v62
	v_add_f16_e32 v35, v35, v36
	v_fma_f16 v36, v14, s22, v116
	v_fma_f16 v164, v10, s23, v163
	v_add_f16_e32 v35, v35, v36
	v_fma_f16 v36, v15, s9, -v117
	v_add_f16_e32 v161, v161, v164
	v_mul_f16_e32 v164, 0xb461, v63
	v_add_f16_e32 v36, v4, v36
	v_fma_f16 v37, v16, s13, -v118
	v_fma_f16 v165, v11, s18, v164
	v_add_f16_e32 v36, v36, v37
	v_fma_f16 v37, v17, s6, -v119
	v_add_f16_e32 v161, v161, v165
	v_mul_f16_e32 v165, 0x39e9, v69
	v_add_f16_e32 v36, v36, v37
	v_fma_f16 v37, v18, s7, -v120
	;; [unrolled: 7-line block ×4, first 2 shown]
	v_fma_f16 v168, v13, s21, v167
	v_add_f16_e32 v36, v36, v37
	v_fma_f16 v37, v6, s18, v125
	v_add_f16_e32 v161, v161, v168
	v_mul_f16_e32 v168, 0xbacd, v75
	v_add_f16_e32 v29, v38, v29
	v_add_f16_e32 v37, v1, v37
	v_fma_f16 v38, v9, s2, v126
	v_fma_f16 v169, v14, s2, v168
	v_add_f16_e32 v37, v37, v38
	v_fma_f16 v38, v10, s20, v127
	v_add_f16_e32 v161, v161, v169
	v_mul_f16_e32 v169, 0xbb29, v77
	v_add_f16_e32 v37, v37, v38
	v_fma_f16 v38, v11, s5, v128
	v_fma_f16 v170, v15, s12, v169
	v_mul_f16_e32 v171, 0xba62, v79
	v_add_f16_e32 v37, v37, v38
	v_fma_f16 v38, v8, s23, v129
	v_add_f16_e32 v170, v4, v170
	v_fma_f16 v172, v16, s9, v171
	;; [unrolled: 2-line block ×3, first 2 shown]
	v_add_f16_e32 v170, v170, v172
	v_mul_f16_e32 v172, 0x31e1, v81
	v_add_f16_e32 v37, v37, v38
	v_fma_f16 v38, v13, s0, v131
	v_fma_f16 v173, v17, s4, v172
	v_add_f16_e32 v37, v37, v38
	v_fma_f16 v38, v14, s15, v132
	v_add_f16_e32 v170, v170, v173
	v_mul_f16_e32 v173, 0x3bb2, v83
	v_add_f16_e32 v37, v37, v38
	v_fma_f16 v38, v15, s13, -v133
	v_fma_f16 v174, v18, s13, v173
	v_add_f16_e32 v38, v4, v38
	v_fma_f16 v39, v16, s7, -v135
	v_add_f16_e32 v170, v170, v174
	v_mul_f16_e32 v174, 0x3964, v85
	v_add_f16_e32 v38, v38, v39
	v_fma_f16 v39, v17, s10, -v136
	v_fma_f16 v175, v20, s10, v174
	v_add_f16_e32 v38, v38, v39
	v_fma_f16 v39, v18, s12, -v137
	;; [unrolled: 7-line block ×4, first 2 shown]
	v_add_f16_e32 v170, v170, v177
	v_mul_f16_e32 v177, 0xb836, v91
	v_add_f16_e32 v38, v38, v39
	v_fma_f16 v39, v6, s8, v142
	v_fma_f16 v178, v23, s7, v177
	v_add_f16_e32 v39, v1, v39
	v_fma_f16 v40, v9, s23, v144
	v_add_f16_e32 v170, v170, v178
	v_mul_f16_e32 v178, 0x39e9, v60
	v_add_f16_e32 v39, v39, v40
	v_fma_f16 v40, v10, s11, v145
	v_fma_f16 v179, v6, s20, v178
	v_mul_f16_e32 v180, 0x2de8, v61
	v_add_f16_e32 v39, v39, v40
	v_fma_f16 v40, v11, s17, v146
	v_add_f16_e32 v179, v1, v179
	v_fma_f16 v181, v9, s21, v180
	;; [unrolled: 2-line block ×3, first 2 shown]
	v_add_f16_e32 v179, v179, v181
	v_mul_f16_e32 v181, 0xb8d2, v62
	v_add_f16_e32 v39, v39, v40
	v_fma_f16 v40, v12, s19, v148
	v_fma_f16 v182, v10, s16, v181
	v_add_f16_e32 v39, v39, v40
	v_fma_f16 v40, v13, s16, v149
	v_add_f16_e32 v179, v179, v182
	v_mul_f16_e32 v182, 0xbbdd, v63
	v_add_f16_e32 v39, v39, v40
	v_fma_f16 v40, v14, s20, v150
	v_fma_f16 v183, v11, s3, v182
	v_add_f16_e32 v39, v39, v40
	v_fma_f16 v40, v15, s14, -v151
	v_add_f16_e32 v179, v179, v183
	v_mul_f16_e32 v183, 0xbacd, v69
	v_add_f16_e32 v40, v4, v40
	v_fma_f16 v41, v16, s4, -v153
	v_fma_f16 v184, v8, s19, v183
	v_add_f16_e32 v40, v40, v41
	v_fma_f16 v41, v17, s13, -v154
	v_add_f16_e32 v179, v179, v184
	v_mul_f16_e32 v184, 0xb461, v71
	v_add_f16_e32 v40, v40, v41
	v_fma_f16 v41, v18, s6, -v155
	;; [unrolled: 7-line block ×4, first 2 shown]
	v_fma_f16 v187, v14, s0, v186
	v_add_f16_e32 v40, v40, v41
	v_fma_f16 v41, v6, s5, v160
	v_add_f16_e32 v179, v179, v187
	v_mul_f16_e32 v187, 0xb964, v77
	v_add_f16_e32 v41, v1, v41
	v_fma_f16 v42, v9, s15, v162
	v_fma_f16 v188, v15, s10, v187
	v_mul_f16_e32 v189, 0xbbf7, v79
	v_add_f16_e32 v41, v41, v42
	v_fma_f16 v42, v10, s3, v163
	v_add_f16_e32 v188, v4, v188
	v_fma_f16 v190, v16, s14, v189
	;; [unrolled: 2-line block ×3, first 2 shown]
	v_add_f16_e32 v188, v188, v190
	v_mul_f16_e32 v190, 0xba62, v81
	v_add_f16_e32 v41, v41, v42
	v_fma_f16 v42, v8, s20, v165
	v_fma_f16 v191, v17, s9, v190
	v_add_f16_e32 v41, v41, v42
	v_fma_f16 v42, v12, s0, v166
	v_add_f16_e32 v188, v188, v191
	v_mul_f16_e32 v191, 0xb1e1, v83
	v_add_f16_e32 v41, v41, v42
	v_fma_f16 v42, v13, s8, v167
	v_fma_f16 v192, v18, s4, v191
	v_add_f16_e32 v41, v41, v42
	v_fma_f16 v42, v14, s19, v168
	v_add_f16_e32 v188, v188, v192
	v_mul_f16_e32 v192, 0x3836, v85
	v_add_f16_e32 v41, v41, v42
	v_fma_f16 v42, v15, s12, -v169
	v_fma_f16 v193, v20, s7, v192
	v_add_f16_e32 v42, v4, v42
	v_fma_f16 v43, v16, s9, -v171
	v_add_f16_e32 v188, v188, v193
	v_mul_f16_e32 v193, 0x3bb2, v87
	v_add_f16_e32 v42, v42, v43
	v_fma_f16 v43, v17, s4, -v172
	v_fma_f16 v194, v21, s13, v193
	v_add_f16_e32 v42, v42, v43
	v_fma_f16 v43, v18, s13, -v173
	;; [unrolled: 7-line block ×3, first 2 shown]
	v_add_f16_e32 v188, v188, v195
	v_mul_f16_e32 v195, 0x35c8, v91
	v_add_f16_e32 v42, v42, v43
	v_fma_f16 v43, v22, s14, -v176
	v_fma_f16 v196, v23, s6, v195
	v_mul_f16_e32 v60, 0x3b76, v60
	v_add_f16_e32 v42, v42, v43
	v_fma_f16 v43, v23, s7, -v177
	v_add_f16_e32 v188, v188, v196
	v_fma_f16 v196, v6, s17, v60
	v_mul_f16_e32 v61, 0x39e9, v61
	v_add_f16_e32 v42, v42, v43
	v_fma_f16 v43, v6, s1, v178
	v_fma_f16 v6, v6, s0, v60
	v_add_f16_e32 v196, v1, v196
	v_fma_f16 v197, v9, s20, v61
	v_mul_f16_e32 v62, 0x3722, v62
	v_add_f16_e32 v43, v1, v43
	v_fma_f16 v44, v9, s8, v180
	v_add_f16_e32 v1, v1, v6
	v_fma_f16 v6, v9, s1, v61
	v_add_f16_e32 v196, v196, v197
	v_fma_f16 v197, v10, s22, v62
	v_mul_f16_e32 v63, 0x2de8, v63
	v_add_f16_e32 v43, v43, v44
	v_fma_f16 v44, v10, s15, v181
	v_add_f16_e32 v1, v1, v6
	v_fma_f16 v6, v10, s5, v62
	v_add_f16_e32 v196, v196, v197
	v_fma_f16 v197, v11, s21, v63
	v_mul_f16_e32 v69, 0xb461, v69
	v_add_f16_e32 v43, v43, v44
	v_fma_f16 v44, v11, s23, v182
	v_add_f16_e32 v1, v1, v6
	v_fma_f16 v6, v11, s8, v63
	v_add_f16_e32 v196, v196, v197
	v_fma_f16 v197, v8, s11, v69
	v_mul_f16_e32 v71, 0xb8d2, v71
	v_add_f16_e32 v43, v43, v44
	v_fma_f16 v44, v8, s2, v183
	v_add_f16_e32 v1, v1, v6
	v_fma_f16 v6, v8, s18, v69
	v_add_f16_e32 v196, v196, v197
	v_fma_f16 v197, v12, s16, v71
	v_mul_f16_e32 v73, 0xbacd, v73
	v_add_f16_e32 v43, v43, v44
	v_fma_f16 v44, v12, s11, v184
	v_add_f16_e32 v1, v1, v6
	v_fma_f16 v6, v12, s15, v71
	v_add_f16_e32 v196, v196, v197
	v_fma_f16 v197, v13, s2, v73
	v_mul_f16_e32 v75, 0xbbdd, v75
	v_add_f16_e32 v43, v43, v44
	v_fma_f16 v44, v13, s22, v185
	v_add_f16_e32 v1, v1, v6
	v_fma_f16 v6, v13, s19, v73
	v_add_f16_e32 v196, v196, v197
	v_fma_f16 v197, v14, s3, v75
	v_mul_f16_e32 v77, 0xb5c8, v77
	v_add_f16_e32 v43, v43, v44
	v_fma_f16 v44, v14, s17, v186
	v_add_f16_e32 v1, v1, v6
	v_fma_f16 v6, v14, s23, v75
	v_add_f16_e32 v196, v196, v197
	v_fma_f16 v197, v15, s6, v77
	v_mul_f16_e32 v79, 0xb964, v79
	v_add_f16_e32 v43, v43, v44
	v_fma_f16 v44, v15, s10, -v187
	v_add_f16_e32 v6, v1, v6
	v_fma_f16 v1, v15, s6, -v77
	v_add_f16_e32 v197, v4, v197
	v_mul_f16_e32 v81, 0xbb29, v81
	v_add_f16_e32 v44, v4, v44
	v_add_f16_e32 v1, v4, v1
	v_fma_f16 v4, v16, s10, -v79
	v_fma_f16 v198, v16, s10, v79
	v_mul_f16_e32 v83, 0xbbf7, v83
	v_add_f16_e32 v1, v1, v4
	v_fma_f16 v4, v17, s12, -v81
	v_add_f16_e32 v197, v197, v198
	v_fma_f16 v198, v17, s12, v81
	v_mul_f16_e32 v85, 0xbbb2, v85
	v_add_f16_e32 v1, v1, v4
	v_fma_f16 v4, v18, s14, -v83
	v_add_f16_e32 v197, v197, v198
	;; [unrolled: 5-line block ×5, first 2 shown]
	v_fma_f16 v198, v22, s7, v89
	v_add_f16_e32 v1, v1, v4
	v_fma_f16 v4, v23, s4, -v91
	v_add_f16_e32 v197, v197, v198
	v_fma_f16 v198, v23, s4, v91
	v_add_f16_e32 v4, v1, v4
	v_mov_b32_e32 v1, v7
	v_add_f16_e32 v197, v197, v198
	v_lshl_add_u64 v[0:1], v[0:1], 2, v[2:3]
	v_pack_b32_f16 v2, v33, v29
	global_store_dword v[0:1], v2, off
	v_pack_b32_f16 v2, v197, v196
	global_store_dword v[0:1], v2, off offset:200
	v_pack_b32_f16 v2, v188, v179
	global_store_dword v[0:1], v2, off offset:400
	;; [unrolled: 2-line block ×5, first 2 shown]
	v_pack_b32_f16 v2, v27, v26
	v_fma_f16 v45, v16, s14, -v189
	global_store_dword v[0:1], v2, off offset:1200
	v_pack_b32_f16 v2, v25, v24
	v_add_f16_e32 v44, v44, v45
	v_fma_f16 v45, v17, s9, -v190
	global_store_dword v[0:1], v2, off offset:1400
	v_pack_b32_f16 v2, v19, v5
	v_add_f16_e32 v44, v44, v45
	;; [unrolled: 4-line block ×7, first 2 shown]
	global_store_dword v[0:1], v2, off offset:2600
	v_pack_b32_f16 v2, v42, v41
	global_store_dword v[0:1], v2, off offset:2800
	v_pack_b32_f16 v2, v44, v43
	;; [unrolled: 2-line block ×3, first 2 shown]
	global_store_dword v[0:1], v2, off offset:3200
	s_endpgm
	.section	.rodata,"a",@progbits
	.p2align	6, 0x0
	.amdhsa_kernel fft_rtc_back_len850_factors_10_5_17_wgs_85_tpt_85_half_ip_CI_unitstride_sbrr_dirReg
		.amdhsa_group_segment_fixed_size 0
		.amdhsa_private_segment_fixed_size 0
		.amdhsa_kernarg_size 88
		.amdhsa_user_sgpr_count 2
		.amdhsa_user_sgpr_dispatch_ptr 0
		.amdhsa_user_sgpr_queue_ptr 0
		.amdhsa_user_sgpr_kernarg_segment_ptr 1
		.amdhsa_user_sgpr_dispatch_id 0
		.amdhsa_user_sgpr_kernarg_preload_length 0
		.amdhsa_user_sgpr_kernarg_preload_offset 0
		.amdhsa_user_sgpr_private_segment_size 0
		.amdhsa_uses_dynamic_stack 0
		.amdhsa_enable_private_segment 0
		.amdhsa_system_sgpr_workgroup_id_x 1
		.amdhsa_system_sgpr_workgroup_id_y 0
		.amdhsa_system_sgpr_workgroup_id_z 0
		.amdhsa_system_sgpr_workgroup_info 0
		.amdhsa_system_vgpr_workitem_id 0
		.amdhsa_next_free_vgpr 199
		.amdhsa_next_free_sgpr 24
		.amdhsa_accum_offset 200
		.amdhsa_reserve_vcc 1
		.amdhsa_float_round_mode_32 0
		.amdhsa_float_round_mode_16_64 0
		.amdhsa_float_denorm_mode_32 3
		.amdhsa_float_denorm_mode_16_64 3
		.amdhsa_dx10_clamp 1
		.amdhsa_ieee_mode 1
		.amdhsa_fp16_overflow 0
		.amdhsa_tg_split 0
		.amdhsa_exception_fp_ieee_invalid_op 0
		.amdhsa_exception_fp_denorm_src 0
		.amdhsa_exception_fp_ieee_div_zero 0
		.amdhsa_exception_fp_ieee_overflow 0
		.amdhsa_exception_fp_ieee_underflow 0
		.amdhsa_exception_fp_ieee_inexact 0
		.amdhsa_exception_int_div_zero 0
	.end_amdhsa_kernel
	.text
.Lfunc_end0:
	.size	fft_rtc_back_len850_factors_10_5_17_wgs_85_tpt_85_half_ip_CI_unitstride_sbrr_dirReg, .Lfunc_end0-fft_rtc_back_len850_factors_10_5_17_wgs_85_tpt_85_half_ip_CI_unitstride_sbrr_dirReg
                                        ; -- End function
	.section	.AMDGPU.csdata,"",@progbits
; Kernel info:
; codeLenInByte = 9524
; NumSgprs: 30
; NumVgprs: 199
; NumAgprs: 0
; TotalNumVgprs: 199
; ScratchSize: 0
; MemoryBound: 0
; FloatMode: 240
; IeeeMode: 1
; LDSByteSize: 0 bytes/workgroup (compile time only)
; SGPRBlocks: 3
; VGPRBlocks: 24
; NumSGPRsForWavesPerEU: 30
; NumVGPRsForWavesPerEU: 199
; AccumOffset: 200
; Occupancy: 2
; WaveLimiterHint : 1
; COMPUTE_PGM_RSRC2:SCRATCH_EN: 0
; COMPUTE_PGM_RSRC2:USER_SGPR: 2
; COMPUTE_PGM_RSRC2:TRAP_HANDLER: 0
; COMPUTE_PGM_RSRC2:TGID_X_EN: 1
; COMPUTE_PGM_RSRC2:TGID_Y_EN: 0
; COMPUTE_PGM_RSRC2:TGID_Z_EN: 0
; COMPUTE_PGM_RSRC2:TIDIG_COMP_CNT: 0
; COMPUTE_PGM_RSRC3_GFX90A:ACCUM_OFFSET: 49
; COMPUTE_PGM_RSRC3_GFX90A:TG_SPLIT: 0
	.text
	.p2alignl 6, 3212836864
	.fill 256, 4, 3212836864
	.type	__hip_cuid_3271f773b3ce3c2a,@object ; @__hip_cuid_3271f773b3ce3c2a
	.section	.bss,"aw",@nobits
	.globl	__hip_cuid_3271f773b3ce3c2a
__hip_cuid_3271f773b3ce3c2a:
	.byte	0                               ; 0x0
	.size	__hip_cuid_3271f773b3ce3c2a, 1

	.ident	"AMD clang version 19.0.0git (https://github.com/RadeonOpenCompute/llvm-project roc-6.4.0 25133 c7fe45cf4b819c5991fe208aaa96edf142730f1d)"
	.section	".note.GNU-stack","",@progbits
	.addrsig
	.addrsig_sym __hip_cuid_3271f773b3ce3c2a
	.amdgpu_metadata
---
amdhsa.kernels:
  - .agpr_count:     0
    .args:
      - .actual_access:  read_only
        .address_space:  global
        .offset:         0
        .size:           8
        .value_kind:     global_buffer
      - .offset:         8
        .size:           8
        .value_kind:     by_value
      - .actual_access:  read_only
        .address_space:  global
        .offset:         16
        .size:           8
        .value_kind:     global_buffer
      - .actual_access:  read_only
        .address_space:  global
        .offset:         24
        .size:           8
        .value_kind:     global_buffer
      - .offset:         32
        .size:           8
        .value_kind:     by_value
      - .actual_access:  read_only
        .address_space:  global
        .offset:         40
        .size:           8
        .value_kind:     global_buffer
      - .actual_access:  read_only
        .address_space:  global
        .offset:         48
        .size:           8
        .value_kind:     global_buffer
      - .offset:         56
        .size:           4
        .value_kind:     by_value
      - .actual_access:  read_only
        .address_space:  global
        .offset:         64
        .size:           8
        .value_kind:     global_buffer
      - .actual_access:  read_only
        .address_space:  global
        .offset:         72
        .size:           8
        .value_kind:     global_buffer
      - .address_space:  global
        .offset:         80
        .size:           8
        .value_kind:     global_buffer
    .group_segment_fixed_size: 0
    .kernarg_segment_align: 8
    .kernarg_segment_size: 88
    .language:       OpenCL C
    .language_version:
      - 2
      - 0
    .max_flat_workgroup_size: 85
    .name:           fft_rtc_back_len850_factors_10_5_17_wgs_85_tpt_85_half_ip_CI_unitstride_sbrr_dirReg
    .private_segment_fixed_size: 0
    .sgpr_count:     30
    .sgpr_spill_count: 0
    .symbol:         fft_rtc_back_len850_factors_10_5_17_wgs_85_tpt_85_half_ip_CI_unitstride_sbrr_dirReg.kd
    .uniform_work_group_size: 1
    .uses_dynamic_stack: false
    .vgpr_count:     199
    .vgpr_spill_count: 0
    .wavefront_size: 64
amdhsa.target:   amdgcn-amd-amdhsa--gfx950
amdhsa.version:
  - 1
  - 2
...

	.end_amdgpu_metadata
